;; amdgpu-corpus repo=ROCm/rocFFT kind=compiled arch=gfx906 opt=O3
	.text
	.amdgcn_target "amdgcn-amd-amdhsa--gfx906"
	.amdhsa_code_object_version 6
	.protected	fft_rtc_back_len594_factors_11_3_6_3_wgs_99_tpt_99_half_ip_CI_unitstride_sbrr_R2C_dirReg ; -- Begin function fft_rtc_back_len594_factors_11_3_6_3_wgs_99_tpt_99_half_ip_CI_unitstride_sbrr_R2C_dirReg
	.globl	fft_rtc_back_len594_factors_11_3_6_3_wgs_99_tpt_99_half_ip_CI_unitstride_sbrr_R2C_dirReg
	.p2align	8
	.type	fft_rtc_back_len594_factors_11_3_6_3_wgs_99_tpt_99_half_ip_CI_unitstride_sbrr_R2C_dirReg,@function
fft_rtc_back_len594_factors_11_3_6_3_wgs_99_tpt_99_half_ip_CI_unitstride_sbrr_R2C_dirReg: ; @fft_rtc_back_len594_factors_11_3_6_3_wgs_99_tpt_99_half_ip_CI_unitstride_sbrr_R2C_dirReg
; %bb.0:
	s_load_dwordx2 s[2:3], s[4:5], 0x50
	s_load_dwordx4 s[8:11], s[4:5], 0x0
	s_load_dwordx2 s[12:13], s[4:5], 0x18
	v_mul_u32_u24_e32 v1, 0x296, v0
	v_add_u32_sdwa v5, s6, v1 dst_sel:DWORD dst_unused:UNUSED_PAD src0_sel:DWORD src1_sel:WORD_1
	v_mov_b32_e32 v3, 0
	s_waitcnt lgkmcnt(0)
	v_cmp_lt_u64_e64 s[0:1], s[10:11], 2
	v_mov_b32_e32 v1, 0
	v_mov_b32_e32 v6, v3
	s_and_b64 vcc, exec, s[0:1]
	v_mov_b32_e32 v2, 0
	s_cbranch_vccnz .LBB0_8
; %bb.1:
	s_load_dwordx2 s[0:1], s[4:5], 0x10
	s_add_u32 s6, s12, 8
	s_addc_u32 s7, s13, 0
	v_mov_b32_e32 v1, 0
	v_mov_b32_e32 v2, 0
	s_waitcnt lgkmcnt(0)
	s_add_u32 s14, s0, 8
	s_addc_u32 s15, s1, 0
	s_mov_b64 s[16:17], 1
.LBB0_2:                                ; =>This Inner Loop Header: Depth=1
	s_load_dwordx2 s[18:19], s[14:15], 0x0
                                        ; implicit-def: $vgpr7_vgpr8
	s_waitcnt lgkmcnt(0)
	v_or_b32_e32 v4, s19, v6
	v_cmp_ne_u64_e32 vcc, 0, v[3:4]
	s_and_saveexec_b64 s[0:1], vcc
	s_xor_b64 s[20:21], exec, s[0:1]
	s_cbranch_execz .LBB0_4
; %bb.3:                                ;   in Loop: Header=BB0_2 Depth=1
	v_cvt_f32_u32_e32 v4, s18
	v_cvt_f32_u32_e32 v7, s19
	s_sub_u32 s0, 0, s18
	s_subb_u32 s1, 0, s19
	v_mac_f32_e32 v4, 0x4f800000, v7
	v_rcp_f32_e32 v4, v4
	v_mul_f32_e32 v4, 0x5f7ffffc, v4
	v_mul_f32_e32 v7, 0x2f800000, v4
	v_trunc_f32_e32 v7, v7
	v_mac_f32_e32 v4, 0xcf800000, v7
	v_cvt_u32_f32_e32 v7, v7
	v_cvt_u32_f32_e32 v4, v4
	v_mul_lo_u32 v8, s0, v7
	v_mul_hi_u32 v9, s0, v4
	v_mul_lo_u32 v11, s1, v4
	v_mul_lo_u32 v10, s0, v4
	v_add_u32_e32 v8, v9, v8
	v_add_u32_e32 v8, v8, v11
	v_mul_hi_u32 v9, v4, v10
	v_mul_lo_u32 v11, v4, v8
	v_mul_hi_u32 v13, v4, v8
	v_mul_hi_u32 v12, v7, v10
	v_mul_lo_u32 v10, v7, v10
	v_mul_hi_u32 v14, v7, v8
	v_add_co_u32_e32 v9, vcc, v9, v11
	v_addc_co_u32_e32 v11, vcc, 0, v13, vcc
	v_mul_lo_u32 v8, v7, v8
	v_add_co_u32_e32 v9, vcc, v9, v10
	v_addc_co_u32_e32 v9, vcc, v11, v12, vcc
	v_addc_co_u32_e32 v10, vcc, 0, v14, vcc
	v_add_co_u32_e32 v8, vcc, v9, v8
	v_addc_co_u32_e32 v9, vcc, 0, v10, vcc
	v_add_co_u32_e32 v4, vcc, v4, v8
	v_addc_co_u32_e32 v7, vcc, v7, v9, vcc
	v_mul_lo_u32 v8, s0, v7
	v_mul_hi_u32 v9, s0, v4
	v_mul_lo_u32 v10, s1, v4
	v_mul_lo_u32 v11, s0, v4
	v_add_u32_e32 v8, v9, v8
	v_add_u32_e32 v8, v8, v10
	v_mul_lo_u32 v12, v4, v8
	v_mul_hi_u32 v13, v4, v11
	v_mul_hi_u32 v14, v4, v8
	;; [unrolled: 1-line block ×3, first 2 shown]
	v_mul_lo_u32 v11, v7, v11
	v_mul_hi_u32 v9, v7, v8
	v_add_co_u32_e32 v12, vcc, v13, v12
	v_addc_co_u32_e32 v13, vcc, 0, v14, vcc
	v_mul_lo_u32 v8, v7, v8
	v_add_co_u32_e32 v11, vcc, v12, v11
	v_addc_co_u32_e32 v10, vcc, v13, v10, vcc
	v_addc_co_u32_e32 v9, vcc, 0, v9, vcc
	v_add_co_u32_e32 v8, vcc, v10, v8
	v_addc_co_u32_e32 v9, vcc, 0, v9, vcc
	v_add_co_u32_e32 v4, vcc, v4, v8
	v_addc_co_u32_e32 v9, vcc, v7, v9, vcc
	v_mad_u64_u32 v[7:8], s[0:1], v5, v9, 0
	v_mul_hi_u32 v10, v5, v4
	v_add_co_u32_e32 v11, vcc, v10, v7
	v_addc_co_u32_e32 v12, vcc, 0, v8, vcc
	v_mad_u64_u32 v[7:8], s[0:1], v6, v4, 0
	v_mad_u64_u32 v[9:10], s[0:1], v6, v9, 0
	v_add_co_u32_e32 v4, vcc, v11, v7
	v_addc_co_u32_e32 v4, vcc, v12, v8, vcc
	v_addc_co_u32_e32 v7, vcc, 0, v10, vcc
	v_add_co_u32_e32 v4, vcc, v4, v9
	v_addc_co_u32_e32 v9, vcc, 0, v7, vcc
	v_mul_lo_u32 v10, s19, v4
	v_mul_lo_u32 v11, s18, v9
	v_mad_u64_u32 v[7:8], s[0:1], s18, v4, 0
	v_add3_u32 v8, v8, v11, v10
	v_sub_u32_e32 v10, v6, v8
	v_mov_b32_e32 v11, s19
	v_sub_co_u32_e32 v7, vcc, v5, v7
	v_subb_co_u32_e64 v10, s[0:1], v10, v11, vcc
	v_subrev_co_u32_e64 v11, s[0:1], s18, v7
	v_subbrev_co_u32_e64 v10, s[0:1], 0, v10, s[0:1]
	v_cmp_le_u32_e64 s[0:1], s19, v10
	v_cndmask_b32_e64 v12, 0, -1, s[0:1]
	v_cmp_le_u32_e64 s[0:1], s18, v11
	v_cndmask_b32_e64 v11, 0, -1, s[0:1]
	v_cmp_eq_u32_e64 s[0:1], s19, v10
	v_cndmask_b32_e64 v10, v12, v11, s[0:1]
	v_add_co_u32_e64 v11, s[0:1], 2, v4
	v_addc_co_u32_e64 v12, s[0:1], 0, v9, s[0:1]
	v_add_co_u32_e64 v13, s[0:1], 1, v4
	v_addc_co_u32_e64 v14, s[0:1], 0, v9, s[0:1]
	v_subb_co_u32_e32 v8, vcc, v6, v8, vcc
	v_cmp_ne_u32_e64 s[0:1], 0, v10
	v_cmp_le_u32_e32 vcc, s19, v8
	v_cndmask_b32_e64 v10, v14, v12, s[0:1]
	v_cndmask_b32_e64 v12, 0, -1, vcc
	v_cmp_le_u32_e32 vcc, s18, v7
	v_cndmask_b32_e64 v7, 0, -1, vcc
	v_cmp_eq_u32_e32 vcc, s19, v8
	v_cndmask_b32_e32 v7, v12, v7, vcc
	v_cmp_ne_u32_e32 vcc, 0, v7
	v_cndmask_b32_e64 v7, v13, v11, s[0:1]
	v_cndmask_b32_e32 v8, v9, v10, vcc
	v_cndmask_b32_e32 v7, v4, v7, vcc
.LBB0_4:                                ;   in Loop: Header=BB0_2 Depth=1
	s_andn2_saveexec_b64 s[0:1], s[20:21]
	s_cbranch_execz .LBB0_6
; %bb.5:                                ;   in Loop: Header=BB0_2 Depth=1
	v_cvt_f32_u32_e32 v4, s18
	s_sub_i32 s20, 0, s18
	v_rcp_iflag_f32_e32 v4, v4
	v_mul_f32_e32 v4, 0x4f7ffffe, v4
	v_cvt_u32_f32_e32 v4, v4
	v_mul_lo_u32 v7, s20, v4
	v_mul_hi_u32 v7, v4, v7
	v_add_u32_e32 v4, v4, v7
	v_mul_hi_u32 v4, v5, v4
	v_mul_lo_u32 v7, v4, s18
	v_add_u32_e32 v8, 1, v4
	v_sub_u32_e32 v7, v5, v7
	v_subrev_u32_e32 v9, s18, v7
	v_cmp_le_u32_e32 vcc, s18, v7
	v_cndmask_b32_e32 v7, v7, v9, vcc
	v_cndmask_b32_e32 v4, v4, v8, vcc
	v_add_u32_e32 v8, 1, v4
	v_cmp_le_u32_e32 vcc, s18, v7
	v_cndmask_b32_e32 v7, v4, v8, vcc
	v_mov_b32_e32 v8, v3
.LBB0_6:                                ;   in Loop: Header=BB0_2 Depth=1
	s_or_b64 exec, exec, s[0:1]
	v_mul_lo_u32 v4, v8, s18
	v_mul_lo_u32 v11, v7, s19
	v_mad_u64_u32 v[9:10], s[0:1], v7, s18, 0
	s_load_dwordx2 s[0:1], s[6:7], 0x0
	s_add_u32 s16, s16, 1
	v_add3_u32 v4, v10, v11, v4
	v_sub_co_u32_e32 v5, vcc, v5, v9
	v_subb_co_u32_e32 v4, vcc, v6, v4, vcc
	s_waitcnt lgkmcnt(0)
	v_mul_lo_u32 v4, s0, v4
	v_mul_lo_u32 v6, s1, v5
	v_mad_u64_u32 v[1:2], s[0:1], s0, v5, v[1:2]
	s_addc_u32 s17, s17, 0
	s_add_u32 s6, s6, 8
	v_add3_u32 v2, v6, v2, v4
	v_mov_b32_e32 v4, s10
	v_mov_b32_e32 v5, s11
	s_addc_u32 s7, s7, 0
	v_cmp_ge_u64_e32 vcc, s[16:17], v[4:5]
	s_add_u32 s14, s14, 8
	s_addc_u32 s15, s15, 0
	s_cbranch_vccnz .LBB0_9
; %bb.7:                                ;   in Loop: Header=BB0_2 Depth=1
	v_mov_b32_e32 v5, v7
	v_mov_b32_e32 v6, v8
	s_branch .LBB0_2
.LBB0_8:
	v_mov_b32_e32 v8, v6
	v_mov_b32_e32 v7, v5
.LBB0_9:
	s_lshl_b64 s[0:1], s[10:11], 3
	s_add_u32 s0, s12, s0
	s_addc_u32 s1, s13, s1
	s_load_dwordx2 s[6:7], s[0:1], 0x0
	s_load_dwordx2 s[10:11], s[4:5], 0x20
	s_waitcnt lgkmcnt(0)
	v_mad_u64_u32 v[1:2], s[0:1], s6, v7, v[1:2]
	s_mov_b32 s0, 0x295fad5
	v_mul_lo_u32 v3, s6, v8
	v_mul_lo_u32 v4, s7, v7
	v_mul_hi_u32 v5, v0, s0
	v_cmp_gt_u64_e32 vcc, s[10:11], v[7:8]
	v_add3_u32 v2, v4, v2, v3
	v_mul_u32_u24_e32 v3, 0x63, v5
	v_sub_u32_e32 v0, v0, v3
	v_lshlrev_b64 v[2:3], 2, v[1:2]
	v_lshl_add_u32 v14, v0, 2, 0
	s_and_saveexec_b64 s[4:5], vcc
	s_cbranch_execz .LBB0_11
; %bb.10:
	v_mov_b32_e32 v1, 0
	v_mov_b32_e32 v4, s3
	v_add_co_u32_e64 v6, s[0:1], s2, v2
	v_addc_co_u32_e64 v7, s[0:1], v4, v3, s[0:1]
	v_lshlrev_b64 v[4:5], 2, v[0:1]
	v_add_co_u32_e64 v4, s[0:1], v6, v4
	v_addc_co_u32_e64 v5, s[0:1], v7, v5, s[0:1]
	global_load_dword v1, v[4:5], off
	global_load_dword v6, v[4:5], off offset:396
	global_load_dword v7, v[4:5], off offset:792
	;; [unrolled: 1-line block ×5, first 2 shown]
	v_add_u32_e32 v4, 0x200, v14
	v_add_u32_e32 v5, 0x400, v14
	s_waitcnt vmcnt(4)
	ds_write2_b32 v14, v1, v6 offset1:99
	s_waitcnt vmcnt(2)
	ds_write2_b32 v4, v7, v8 offset0:70 offset1:169
	s_waitcnt vmcnt(0)
	ds_write2_b32 v5, v9, v10 offset0:140 offset1:239
.LBB0_11:
	s_or_b64 exec, exec, s[4:5]
	v_add_u32_e32 v1, 0x200, v14
	v_add_u32_e32 v15, 0x400, v14
	s_waitcnt lgkmcnt(0)
	s_barrier
	ds_read2_b32 v[4:5], v14 offset1:54
	ds_read2_b32 v[8:9], v14 offset0:108 offset1:162
	ds_read2_b32 v[6:7], v1 offset0:88 offset1:142
	;; [unrolled: 1-line block ×4, first 2 shown]
	ds_read_b32 v16, v14 offset:2160
	v_cmp_gt_u32_e64 s[0:1], 54, v0
	s_waitcnt lgkmcnt(0)
	s_barrier
	s_and_saveexec_b64 s[4:5], s[0:1]
	s_cbranch_execz .LBB0_13
; %bb.12:
	v_pk_add_f16 v17, v4, v5
	v_pk_add_f16 v17, v17, v8
	;; [unrolled: 1-line block ×10, first 2 shown]
	v_pk_add_f16 v5, v5, v16 neg_lo:[0,1] neg_hi:[0,1]
	s_mov_b32 s16, 0xb853
	v_pk_add_f16 v17, v17, v16
	v_pk_add_f16 v16, v13, v8
	v_pk_add_f16 v8, v8, v13 neg_lo:[0,1] neg_hi:[0,1]
	v_pk_add_f16 v13, v12, v9
	v_pk_add_f16 v9, v9, v12 neg_lo:[0,1] neg_hi:[0,1]
	;; [unrolled: 2-line block ×4, first 2 shown]
	s_movk_i32 s10, 0x3abb
	s_mov_b32 s14, 0xbb47
	v_pk_mul_f16 v10, v5, s16 op_sel_hi:[1,0]
	s_movk_i32 s11, 0x36a6
	v_pk_fma_f16 v19, v18, s10, v10 op_sel:[0,0,1] op_sel_hi:[1,0,0]
	v_pk_fma_f16 v10, v18, s10, v10 op_sel:[0,0,1] op_sel_hi:[1,0,0] neg_lo:[0,0,1] neg_hi:[0,0,1]
	s_mov_b32 s15, 0xffff
	v_pk_mul_f16 v21, v8, s14 op_sel_hi:[1,0]
	v_bfi_b32 v20, s15, v19, v10
	v_pk_fma_f16 v22, v16, s11, v21 op_sel:[0,0,1] op_sel_hi:[1,0,0]
	v_pk_fma_f16 v21, v16, s11, v21 op_sel:[0,0,1] op_sel_hi:[1,0,0] neg_lo:[0,0,1] neg_hi:[0,0,1]
	s_mov_b32 s0, 0xbbeb
	v_pk_add_f16 v20, v4, v20
	v_bfi_b32 v23, s15, v22, v21
	s_mov_b32 s1, 0xb08e
	v_pk_add_f16 v20, v23, v20
	v_pk_mul_f16 v23, v9, s0 op_sel_hi:[1,0]
	v_pk_fma_f16 v24, v13, s1, v23 op_sel:[0,0,1] op_sel_hi:[1,0,0]
	v_pk_fma_f16 v23, v13, s1, v23 op_sel:[0,0,1] op_sel_hi:[1,0,0] neg_lo:[0,0,1] neg_hi:[0,0,1]
	s_mov_b32 s7, 0xba0c
	v_bfi_b32 v25, s15, v24, v23
	s_mov_b32 s6, 0xb93d
	v_pk_add_f16 v20, v25, v20
	v_pk_mul_f16 v25, v6, s7 op_sel_hi:[1,0]
	v_pk_fma_f16 v26, v12, s6, v25 op_sel:[0,0,1] op_sel_hi:[1,0,0]
	v_pk_fma_f16 v25, v12, s6, v25 op_sel:[0,0,1] op_sel_hi:[1,0,0] neg_lo:[0,0,1] neg_hi:[0,0,1]
	s_mov_b32 s12, 0xb482
	v_bfi_b32 v27, s15, v26, v25
	s_mov_b32 s13, 0xbbad
	v_pk_add_f16 v20, v27, v20
	v_pk_mul_f16 v27, v7, s12 op_sel_hi:[1,0]
	v_pk_fma_f16 v28, v11, s13, v27 op_sel:[0,0,1] op_sel_hi:[1,0,0]
	v_pk_fma_f16 v27, v11, s13, v27 op_sel:[0,0,1] op_sel_hi:[1,0,0] neg_lo:[0,0,1] neg_hi:[0,0,1]
	v_bfi_b32 v29, s15, v28, v27
	v_pk_add_f16 v20, v29, v20
	v_mad_u32_u24 v29, v0, 40, v14
	s_movk_i32 s17, 0x3beb
	ds_write2_b32 v29, v17, v20 offset1:1
	v_mul_f16_sdwa v17, v18, s1 dst_sel:DWORD dst_unused:UNUSED_PAD src0_sel:WORD_1 src1_sel:DWORD
	v_fma_f16 v20, v5, s17, v17
	v_mul_f16_sdwa v30, v16, s13 dst_sel:DWORD dst_unused:UNUSED_PAD src0_sel:WORD_1 src1_sel:DWORD
	v_add_f16_sdwa v20, v4, v20 dst_sel:DWORD dst_unused:UNUSED_PAD src0_sel:WORD_1 src1_sel:DWORD
	v_fma_f16 v31, v8, s12, v30
	v_add_f16_e32 v20, v31, v20
	v_mul_f16_sdwa v31, v13, s11 dst_sel:DWORD dst_unused:UNUSED_PAD src0_sel:WORD_1 src1_sel:DWORD
	v_fma_f16 v32, v9, s14, v31
	v_add_f16_e32 v20, v32, v20
	s_movk_i32 s18, 0x3853
	v_mul_f16_sdwa v32, v12, s10 dst_sel:DWORD dst_unused:UNUSED_PAD src0_sel:WORD_1 src1_sel:DWORD
	v_fma_f16 v33, v6, s18, v32
	v_add_f16_e32 v20, v33, v20
	s_movk_i32 s19, 0x3a0c
	;; [unrolled: 4-line block ×3, first 2 shown]
	v_mul_f16_sdwa v34, v5, s0 dst_sel:DWORD dst_unused:UNUSED_PAD src0_sel:WORD_1 src1_sel:DWORD
	v_fma_f16 v35, v18, s1, v34
	v_mul_f16_sdwa v36, v8, s20 dst_sel:DWORD dst_unused:UNUSED_PAD src0_sel:WORD_1 src1_sel:DWORD
	v_add_f16_e32 v35, v4, v35
	v_fma_f16 v37, v16, s13, v36
	s_movk_i32 s21, 0x3b47
	v_add_f16_e32 v35, v37, v35
	v_mul_f16_sdwa v37, v9, s21 dst_sel:DWORD dst_unused:UNUSED_PAD src0_sel:WORD_1 src1_sel:DWORD
	v_fma_f16 v38, v13, s11, v37
	v_add_f16_e32 v35, v38, v35
	v_mul_f16_sdwa v38, v6, s16 dst_sel:DWORD dst_unused:UNUSED_PAD src0_sel:WORD_1 src1_sel:DWORD
	v_fma_f16 v39, v12, s10, v38
	;; [unrolled: 3-line block ×4, first 2 shown]
	v_mul_f16_sdwa v42, v16, s6 dst_sel:DWORD dst_unused:UNUSED_PAD src0_sel:WORD_1 src1_sel:DWORD
	v_add_f16_sdwa v41, v4, v41 dst_sel:DWORD dst_unused:UNUSED_PAD src0_sel:WORD_1 src1_sel:DWORD
	v_fma_f16 v43, v8, s19, v42
	v_add_f16_e32 v41, v43, v41
	v_mul_f16_sdwa v43, v13, s13 dst_sel:DWORD dst_unused:UNUSED_PAD src0_sel:WORD_1 src1_sel:DWORD
	v_fma_f16 v44, v9, s12, v43
	v_add_f16_e32 v41, v44, v41
	v_mul_f16_sdwa v44, v12, s1 dst_sel:DWORD dst_unused:UNUSED_PAD src0_sel:WORD_1 src1_sel:DWORD
	;; [unrolled: 3-line block ×4, first 2 shown]
	v_fma_f16 v47, v18, s11, v46
	v_mul_f16_sdwa v48, v8, s7 dst_sel:DWORD dst_unused:UNUSED_PAD src0_sel:WORD_1 src1_sel:DWORD
	v_add_f16_e32 v47, v4, v47
	v_fma_f16 v49, v16, s6, v48
	v_add_f16_e32 v47, v49, v47
	v_mul_f16_sdwa v49, v9, s20 dst_sel:DWORD dst_unused:UNUSED_PAD src0_sel:WORD_1 src1_sel:DWORD
	v_fma_f16 v50, v13, s13, v49
	v_add_f16_e32 v47, v50, v47
	v_mul_f16_sdwa v50, v6, s17 dst_sel:DWORD dst_unused:UNUSED_PAD src0_sel:WORD_1 src1_sel:DWORD
	v_fma_f16 v51, v12, s1, v50
	v_add_f16_e32 v47, v51, v47
	v_mul_f16_sdwa v51, v7, s18 dst_sel:DWORD dst_unused:UNUSED_PAD src0_sel:WORD_1 src1_sel:DWORD
	v_fma_f16 v52, v11, s10, v51
	v_add_f16_e32 v47, v52, v47
	v_pack_b32_f16 v20, v35, v20
	v_pack_b32_f16 v35, v47, v41
	v_fma_f16 v17, v5, s0, v17
	ds_write2_b32 v29, v35, v20 offset0:2 offset1:3
	v_mul_f16_sdwa v20, v18, s6 dst_sel:DWORD dst_unused:UNUSED_PAD src0_sel:WORD_1 src1_sel:DWORD
	v_add_f16_sdwa v17, v4, v17 dst_sel:DWORD dst_unused:UNUSED_PAD src0_sel:WORD_1 src1_sel:DWORD
	v_fma_f16 v30, v8, s20, v30
	v_fma_f16 v35, v5, s19, v20
	v_mul_f16_sdwa v41, v16, s1 dst_sel:DWORD dst_unused:UNUSED_PAD src0_sel:WORD_1 src1_sel:DWORD
	v_add_f16_e32 v17, v30, v17
	v_fma_f16 v30, v9, s21, v31
	v_add_f16_sdwa v35, v4, v35 dst_sel:DWORD dst_unused:UNUSED_PAD src0_sel:WORD_1 src1_sel:DWORD
	v_fma_f16 v47, v8, s0, v41
	v_add_f16_e32 v17, v30, v17
	v_fma_f16 v30, v6, s16, v32
	v_add_f16_e32 v35, v47, v35
	v_mul_f16_sdwa v47, v13, s10 dst_sel:DWORD dst_unused:UNUSED_PAD src0_sel:WORD_1 src1_sel:DWORD
	v_add_f16_e32 v17, v30, v17
	v_fma_f16 v30, v7, s7, v33
	v_fma_f16 v52, v9, s18, v47
	v_add_f16_e32 v17, v30, v17
	v_fma_f16 v30, v18, s1, -v34
	v_add_f16_e32 v35, v52, v35
	v_mul_f16_sdwa v52, v12, s13 dst_sel:DWORD dst_unused:UNUSED_PAD src0_sel:WORD_1 src1_sel:DWORD
	v_add_f16_e32 v30, v4, v30
	v_fma_f16 v31, v16, s13, -v36
	v_fma_f16 v53, v6, s20, v52
	v_add_f16_e32 v30, v31, v30
	v_fma_f16 v31, v13, s11, -v37
	v_add_f16_e32 v35, v53, v35
	v_mul_f16_sdwa v53, v11, s11 dst_sel:DWORD dst_unused:UNUSED_PAD src0_sel:WORD_1 src1_sel:DWORD
	v_add_f16_e32 v30, v31, v30
	v_fma_f16 v31, v12, s10, -v38
	v_fma_f16 v54, v7, s14, v53
	v_add_f16_e32 v30, v31, v30
	v_fma_f16 v31, v11, s6, -v39
	v_add_f16_e32 v35, v54, v35
	v_mul_f16_sdwa v54, v5, s7 dst_sel:DWORD dst_unused:UNUSED_PAD src0_sel:WORD_1 src1_sel:DWORD
	v_add_f16_e32 v30, v31, v30
	v_fma_f16 v31, v5, s14, v40
	v_fma_f16 v55, v18, s6, v54
	v_mul_f16_sdwa v56, v8, s17 dst_sel:DWORD dst_unused:UNUSED_PAD src0_sel:WORD_1 src1_sel:DWORD
	v_add_f16_sdwa v31, v4, v31 dst_sel:DWORD dst_unused:UNUSED_PAD src0_sel:WORD_1 src1_sel:DWORD
	v_fma_f16 v32, v8, s7, v42
	v_add_f16_e32 v55, v4, v55
	v_fma_f16 v57, v16, s1, v56
	v_add_f16_e32 v31, v32, v31
	v_fma_f16 v32, v9, s20, v43
	v_add_f16_e32 v55, v57, v55
	v_mul_f16_sdwa v57, v9, s16 dst_sel:DWORD dst_unused:UNUSED_PAD src0_sel:WORD_1 src1_sel:DWORD
	v_add_f16_e32 v31, v32, v31
	v_fma_f16 v32, v6, s17, v44
	v_fma_f16 v58, v13, s10, v57
	v_add_f16_e32 v31, v32, v31
	v_fma_f16 v32, v7, s18, v45
	v_add_f16_e32 v55, v58, v55
	v_mul_f16_sdwa v58, v6, s12 dst_sel:DWORD dst_unused:UNUSED_PAD src0_sel:WORD_1 src1_sel:DWORD
	v_fma_f16 v20, v5, s7, v20
	v_add_f16_e32 v31, v32, v31
	v_fma_f16 v32, v18, s11, -v46
	v_fma_f16 v59, v12, s13, v58
	v_add_f16_sdwa v20, v4, v20 dst_sel:DWORD dst_unused:UNUSED_PAD src0_sel:WORD_1 src1_sel:DWORD
	v_fma_f16 v41, v8, s17, v41
	v_add_f16_e32 v32, v4, v32
	v_fma_f16 v33, v16, s6, -v48
	v_add_f16_e32 v55, v59, v55
	v_mul_f16_sdwa v59, v7, s21 dst_sel:DWORD dst_unused:UNUSED_PAD src0_sel:WORD_1 src1_sel:DWORD
	v_add_f16_e32 v20, v41, v20
	v_fma_f16 v41, v9, s16, v47
	v_add_f16_e32 v32, v33, v32
	v_fma_f16 v33, v13, s13, -v49
	v_fma_f16 v60, v11, s11, v59
	v_add_f16_e32 v20, v41, v20
	v_fma_f16 v41, v6, s12, v52
	v_add_f16_e32 v32, v33, v32
	v_fma_f16 v33, v12, s1, -v50
	v_add_f16_e32 v55, v60, v55
	v_add_f16_e32 v20, v41, v20
	v_fma_f16 v41, v7, s21, v53
	v_add_f16_e32 v32, v33, v32
	v_fma_f16 v33, v11, s10, -v51
	v_add_f16_e32 v20, v41, v20
	v_fma_f16 v41, v18, s6, -v54
	v_add_f16_e32 v32, v33, v32
	v_pack_b32_f16 v33, v55, v35
	v_pk_mul_f16 v18, v18, s13 op_sel_hi:[1,0]
	v_fma_f16 v47, v16, s1, -v56
	ds_write_b32 v29, v33 offset:16
	v_pk_fma_f16 v33, v5, s12, v18 op_sel:[0,0,1] op_sel_hi:[1,0,0]
	v_pk_mul_f16 v16, v16, s10 op_sel_hi:[1,0]
	v_add_f16_e32 v41, v4, v41
	v_alignbit_b32 v34, s0, v33, 16
	v_pk_fma_f16 v35, v8, s18, v16 op_sel:[0,0,1] op_sel_hi:[1,0,0]
	v_add_f16_e32 v41, v47, v41
	v_fma_f16 v47, v13, s10, -v57
	v_pk_add_f16 v34, v4, v34
	v_alignbit_b32 v36, s0, v35, 16
	v_pk_mul_f16 v13, v13, s6 op_sel_hi:[1,0]
	v_pk_add_f16 v34, v36, v34
	v_pk_fma_f16 v36, v9, s7, v13 op_sel:[0,0,1] op_sel_hi:[1,0,0]
	v_add_f16_e32 v41, v47, v41
	v_fma_f16 v47, v12, s13, -v58
	v_alignbit_b32 v37, s0, v36, 16
	v_pk_mul_f16 v12, v12, s11 op_sel_hi:[1,0]
	v_pk_add_f16 v34, v37, v34
	v_pk_fma_f16 v37, v6, s21, v12 op_sel:[0,0,1] op_sel_hi:[1,0,0]
	v_add_f16_e32 v41, v47, v41
	v_fma_f16 v47, v11, s11, -v59
	v_alignbit_b32 v38, s0, v37, 16
	v_pk_mul_f16 v11, v11, s1 op_sel_hi:[1,0]
	v_pk_add_f16 v34, v38, v34
	v_pk_fma_f16 v38, v7, s0, v11 op_sel:[0,0,1] op_sel_hi:[1,0,0]
	v_alignbit_b32 v39, s0, v38, 16
	v_pk_add_f16 v34, v39, v34
	v_alignbit_b32 v39, s0, v4, 16
	v_pk_fma_f16 v5, v5, s12, v18 op_sel:[0,0,1] op_sel_hi:[1,0,0] neg_lo:[1,0,0] neg_hi:[1,0,0]
	v_pk_add_f16 v33, v39, v33
	v_pk_fma_f16 v8, v8, s18, v16 op_sel:[0,0,1] op_sel_hi:[1,0,0] neg_lo:[1,0,0] neg_hi:[1,0,0]
	v_pk_add_f16 v5, v4, v5 op_sel:[1,0] op_sel_hi:[0,1]
	v_pk_add_f16 v33, v35, v33
	v_pk_add_f16 v5, v8, v5
	v_pk_fma_f16 v8, v9, s7, v13 op_sel:[0,0,1] op_sel_hi:[1,0,0] neg_lo:[1,0,0] neg_hi:[1,0,0]
	v_pk_add_f16 v33, v36, v33
	v_pk_add_f16 v5, v8, v5
	v_pk_fma_f16 v6, v6, s21, v12 op_sel:[0,0,1] op_sel_hi:[1,0,0] neg_lo:[1,0,0] neg_hi:[1,0,0]
	;; [unrolled: 3-line block ×3, first 2 shown]
	v_pk_add_f16 v33, v38, v33
	v_pk_add_f16 v5, v6, v5
	v_add_f16_e32 v41, v47, v41
	v_alignbit_b32 v6, v33, v5, 16
	v_pack_b32_f16 v5, v34, v5
	ds_write2_b32 v29, v5, v6 offset0:5 offset1:6
	v_pack_b32_f16 v5, v30, v17
	v_pack_b32_f16 v6, v41, v20
	ds_write2_b32 v29, v6, v5 offset0:7 offset1:8
	v_bfi_b32 v5, s15, v10, v19
	v_pk_add_f16 v4, v4, v5
	v_bfi_b32 v5, s15, v21, v22
	v_pk_add_f16 v4, v5, v4
	;; [unrolled: 2-line block ×5, first 2 shown]
	v_pack_b32_f16 v5, v32, v31
	ds_write2_b32 v29, v5, v4 offset0:9 offset1:10
.LBB0_13:
	s_or_b64 exec, exec, s[4:5]
	s_movk_i32 s0, 0x75
	v_mul_lo_u16_sdwa v4, v0, s0 dst_sel:DWORD dst_unused:UNUSED_PAD src0_sel:BYTE_0 src1_sel:DWORD
	v_sub_u16_sdwa v5, v0, v4 dst_sel:DWORD dst_unused:UNUSED_PAD src0_sel:DWORD src1_sel:BYTE_1
	v_lshrrev_b16_e32 v5, 1, v5
	v_add_u32_e32 v16, 0x63, v0
	v_and_b32_e32 v5, 0x7f, v5
	v_add_u16_sdwa v4, v5, v4 dst_sel:DWORD dst_unused:UNUSED_PAD src0_sel:DWORD src1_sel:BYTE_1
	v_mul_lo_u16_sdwa v5, v16, s0 dst_sel:DWORD dst_unused:UNUSED_PAD src0_sel:BYTE_0 src1_sel:DWORD
	v_sub_u16_sdwa v7, v16, v5 dst_sel:DWORD dst_unused:UNUSED_PAD src0_sel:DWORD src1_sel:BYTE_1
	v_lshrrev_b16_e32 v7, 1, v7
	v_and_b32_e32 v7, 0x7f, v7
	v_lshrrev_b16_e32 v17, 3, v4
	v_add_u16_sdwa v5, v7, v5 dst_sel:DWORD dst_unused:UNUSED_PAD src0_sel:DWORD src1_sel:BYTE_1
	v_mul_lo_u16_e32 v4, 11, v17
	v_lshrrev_b16_e32 v19, 3, v5
	v_sub_u16_e32 v18, v0, v4
	v_mov_b32_e32 v6, 3
	v_mul_lo_u16_e32 v7, 11, v19
	v_lshlrev_b32_sdwa v4, v6, v18 dst_sel:DWORD dst_unused:UNUSED_PAD src0_sel:DWORD src1_sel:BYTE_0
	v_sub_u16_e32 v20, v16, v7
	s_waitcnt lgkmcnt(0)
	s_barrier
	global_load_dwordx2 v[4:5], v4, s[8:9]
	v_lshlrev_b32_sdwa v6, v6, v20 dst_sel:DWORD dst_unused:UNUSED_PAD src0_sel:DWORD src1_sel:BYTE_0
	global_load_dwordx2 v[6:7], v6, s[8:9]
	ds_read2_b32 v[8:9], v14 offset1:99
	ds_read_u16 v21, v14 offset:2
	ds_read2_b32 v[10:11], v1 offset0:70 offset1:169
	ds_read2_b32 v[12:13], v15 offset0:140 offset1:239
	v_mov_b32_e32 v22, 2
	v_mul_u32_u24_e32 v17, 0x84, v17
	v_mul_u32_u24_e32 v19, 0x84, v19
	s_waitcnt lgkmcnt(1)
	v_lshrrev_b32_e32 v24, 16, v10
	s_waitcnt lgkmcnt(0)
	v_lshrrev_b32_e32 v25, 16, v12
	v_lshlrev_b32_sdwa v18, v22, v18 dst_sel:DWORD dst_unused:UNUSED_PAD src0_sel:DWORD src1_sel:BYTE_0
	v_lshlrev_b32_sdwa v20, v22, v20 dst_sel:DWORD dst_unused:UNUSED_PAD src0_sel:DWORD src1_sel:BYTE_0
	v_lshrrev_b32_e32 v26, 16, v11
	v_lshrrev_b32_e32 v27, 16, v13
	v_add3_u32 v17, 0, v17, v18
	v_add3_u32 v18, 0, v19, v20
	v_lshrrev_b32_e32 v23, 16, v9
	s_mov_b32 s4, 0xbaee
	s_movk_i32 s5, 0x3aee
	s_waitcnt vmcnt(0)
	s_barrier
	s_movk_i32 s0, 0xf9
	v_mul_f16_sdwa v19, v4, v24 dst_sel:DWORD dst_unused:UNUSED_PAD src0_sel:WORD_1 src1_sel:DWORD
	v_mul_f16_sdwa v20, v4, v10 dst_sel:DWORD dst_unused:UNUSED_PAD src0_sel:WORD_1 src1_sel:DWORD
	;; [unrolled: 1-line block ×8, first 2 shown]
	v_fma_f16 v10, v4, v10, v19
	v_fma_f16 v4, v4, v24, -v20
	v_fma_f16 v12, v5, v12, v28
	v_fma_f16 v5, v5, v25, -v29
	;; [unrolled: 2-line block ×4, first 2 shown]
	v_add_f16_e32 v20, v10, v12
	v_sub_f16_e32 v24, v4, v5
	v_add_f16_e32 v25, v21, v4
	v_add_f16_e32 v4, v4, v5
	;; [unrolled: 1-line block ×3, first 2 shown]
	v_sub_f16_e32 v10, v10, v12
	v_add_f16_e32 v27, v11, v13
	v_sub_f16_e32 v28, v6, v7
	v_add_f16_e32 v29, v23, v6
	v_add_f16_e32 v6, v6, v7
	v_fma_f16 v8, v20, -0.5, v8
	v_fma_f16 v4, v4, -0.5, v21
	v_add_f16_e32 v26, v9, v11
	v_sub_f16_e32 v11, v11, v13
	v_add_f16_e32 v12, v19, v12
	v_add_f16_e32 v5, v25, v5
	v_fma_f16 v9, v27, -0.5, v9
	v_fma_f16 v6, v6, -0.5, v23
	v_fma_f16 v19, v24, s4, v8
	v_fma_f16 v8, v24, s5, v8
	v_fma_f16 v20, v10, s5, v4
	v_fma_f16 v4, v10, s4, v4
	v_add_f16_e32 v13, v26, v13
	v_add_f16_e32 v7, v29, v7
	v_fma_f16 v10, v28, s4, v9
	v_fma_f16 v21, v11, s5, v6
	;; [unrolled: 1-line block ×3, first 2 shown]
	v_pack_b32_f16 v5, v12, v5
	v_pack_b32_f16 v11, v19, v20
	;; [unrolled: 1-line block ×3, first 2 shown]
	v_fma_f16 v9, v28, s5, v9
	v_pack_b32_f16 v7, v13, v7
	ds_write2_b32 v17, v5, v11 offset1:11
	ds_write_b32 v17, v4 offset:88
	v_pack_b32_f16 v4, v10, v21
	ds_write2_b32 v18, v7, v4 offset1:11
	v_pack_b32_f16 v4, v9, v6
	ds_write_b32 v18, v4 offset:88
	v_mul_lo_u16_sdwa v4, v0, s0 dst_sel:DWORD dst_unused:UNUSED_PAD src0_sel:BYTE_0 src1_sel:DWORD
	v_lshrrev_b16_e32 v17, 13, v4
	v_mul_lo_u16_e32 v4, 33, v17
	v_sub_u16_e32 v18, v0, v4
	v_mov_b32_e32 v4, 5
	v_mul_u32_u24_sdwa v4, v18, v4 dst_sel:DWORD dst_unused:UNUSED_PAD src0_sel:BYTE_0 src1_sel:DWORD
	v_lshlrev_b32_e32 v8, 2, v4
	s_waitcnt lgkmcnt(0)
	s_barrier
	global_load_dwordx4 v[4:7], v8, s[8:9] offset:88
	global_load_dword v19, v8, s[8:9] offset:104
	ds_read2_b32 v[8:9], v14 offset1:99
	ds_read2_b32 v[10:11], v1 offset0:70 offset1:169
	ds_read2_b32 v[12:13], v15 offset0:140 offset1:239
	s_waitcnt vmcnt(0) lgkmcnt(0)
	s_barrier
	v_lshrrev_b32_e32 v21, 16, v9
	v_lshrrev_b32_e32 v24, 16, v11
	;; [unrolled: 1-line block ×6, first 2 shown]
	v_mul_f16_sdwa v27, v4, v21 dst_sel:DWORD dst_unused:UNUSED_PAD src0_sel:WORD_1 src1_sel:DWORD
	v_mul_f16_sdwa v28, v4, v9 dst_sel:DWORD dst_unused:UNUSED_PAD src0_sel:WORD_1 src1_sel:DWORD
	;; [unrolled: 1-line block ×10, first 2 shown]
	v_fma_f16 v9, v4, v9, v27
	v_fma_f16 v4, v4, v21, -v28
	v_fma_f16 v11, v6, v11, v31
	v_fma_f16 v6, v6, v24, -v32
	;; [unrolled: 2-line block ×5, first 2 shown]
	v_sub_f16_e32 v28, v6, v19
	v_add_f16_e32 v29, v4, v6
	v_add_f16_e32 v6, v6, v19
	v_add_f16_e32 v21, v8, v10
	v_add_f16_e32 v23, v10, v12
	v_sub_f16_e32 v24, v5, v7
	v_add_f16_e32 v25, v20, v5
	v_add_f16_e32 v5, v5, v7
	;; [unrolled: 1-line block ×4, first 2 shown]
	v_sub_f16_e32 v11, v11, v13
	v_fma_f16 v4, v6, -0.5, v4
	v_sub_f16_e32 v10, v10, v12
	v_add_f16_e32 v12, v21, v12
	v_fma_f16 v8, v23, -0.5, v8
	v_fma_f16 v5, v5, -0.5, v20
	v_fma_f16 v9, v27, -0.5, v9
	v_fma_f16 v21, v11, s5, v4
	v_fma_f16 v4, v11, s4, v4
	v_add_f16_e32 v7, v25, v7
	v_fma_f16 v6, v24, s4, v8
	v_fma_f16 v8, v24, s5, v8
	;; [unrolled: 1-line block ×6, first 2 shown]
	v_mul_f16_e32 v24, 0xbaee, v21
	v_mul_f16_e32 v25, 0xbaee, v4
	v_mul_f16_e32 v21, 0.5, v21
	v_mul_f16_e32 v4, -0.5, v4
	v_add_f16_e32 v13, v26, v13
	v_add_f16_e32 v19, v29, v19
	v_fma_f16 v24, v10, 0.5, v24
	v_fma_f16 v10, v10, s5, v21
	v_fma_f16 v4, v9, s5, v4
	v_add_f16_e32 v11, v12, v13
	v_add_f16_e32 v23, v7, v19
	v_fma_f16 v25, v9, -0.5, v25
	v_add_f16_e32 v9, v6, v24
	v_add_f16_e32 v26, v20, v10
	;; [unrolled: 1-line block ×3, first 2 shown]
	v_sub_f16_e32 v12, v12, v13
	v_sub_f16_e32 v4, v5, v4
	v_mul_u32_u24_e32 v5, 0x318, v17
	v_lshlrev_b32_sdwa v13, v22, v18 dst_sel:DWORD dst_unused:UNUSED_PAD src0_sel:DWORD src1_sel:BYTE_0
	v_add_f16_e32 v21, v8, v25
	v_sub_f16_e32 v6, v6, v24
	v_sub_f16_e32 v8, v8, v25
	;; [unrolled: 1-line block ×4, first 2 shown]
	v_add3_u32 v5, 0, v5, v13
	v_pack_b32_f16 v11, v11, v23
	v_pack_b32_f16 v9, v9, v26
	ds_write2_b32 v5, v11, v9 offset1:33
	v_pack_b32_f16 v9, v21, v27
	v_pack_b32_f16 v7, v12, v7
	;; [unrolled: 1-line block ×4, first 2 shown]
	ds_write2_b32 v5, v9, v7 offset0:66 offset1:99
	ds_write2_b32 v5, v6, v4 offset0:132 offset1:165
	v_lshlrev_b32_e32 v4, 1, v0
	v_mov_b32_e32 v5, 0
	v_lshlrev_b64 v[6:7], 2, v[4:5]
	v_lshlrev_b32_e32 v4, 1, v16
	v_mov_b32_e32 v10, s9
	v_add_co_u32_e64 v6, s[0:1], s8, v6
	v_lshlrev_b64 v[8:9], 2, v[4:5]
	v_addc_co_u32_e64 v7, s[0:1], v10, v7, s[0:1]
	v_add_co_u32_e64 v8, s[0:1], s8, v8
	s_waitcnt lgkmcnt(0)
	s_barrier
	global_load_dwordx2 v[6:7], v[6:7], off offset:748
	v_addc_co_u32_e64 v9, s[0:1], v10, v9, s[0:1]
	global_load_dwordx2 v[8:9], v[8:9], off offset:748
	ds_read2_b32 v[10:11], v14 offset1:99
	ds_read2_b32 v[12:13], v1 offset0:70 offset1:169
	ds_read2_b32 v[16:17], v15 offset0:140 offset1:239
	s_waitcnt vmcnt(0) lgkmcnt(0)
	s_barrier
	v_lshrrev_b32_e32 v22, 16, v10
	v_lshrrev_b32_e32 v18, 16, v12
	;; [unrolled: 1-line block ×6, first 2 shown]
	v_cmp_ne_u32_e64 s[0:1], 0, v0
	v_mul_f16_sdwa v23, v6, v18 dst_sel:DWORD dst_unused:UNUSED_PAD src0_sel:WORD_1 src1_sel:DWORD
	v_mul_f16_sdwa v24, v6, v12 dst_sel:DWORD dst_unused:UNUSED_PAD src0_sel:WORD_1 src1_sel:DWORD
	;; [unrolled: 1-line block ×8, first 2 shown]
	v_fma_f16 v12, v6, v12, v23
	v_fma_f16 v6, v6, v18, -v24
	v_fma_f16 v16, v7, v16, v25
	v_fma_f16 v7, v7, v19, -v26
	;; [unrolled: 2-line block ×4, first 2 shown]
	v_add_f16_e32 v19, v12, v16
	v_sub_f16_e32 v20, v6, v7
	v_add_f16_e32 v21, v6, v22
	v_add_f16_e32 v6, v6, v7
	;; [unrolled: 1-line block ×3, first 2 shown]
	v_sub_f16_e32 v12, v12, v16
	v_add_f16_e32 v23, v11, v13
	v_add_f16_e32 v24, v13, v17
	v_sub_f16_e32 v25, v8, v9
	v_fma_f16 v10, v19, -0.5, v10
	v_add_f16_e32 v7, v21, v7
	v_fma_f16 v6, v6, -0.5, v22
	v_add_f16_e32 v21, v4, v8
	v_add_f16_e32 v8, v8, v9
	;; [unrolled: 1-line block ×4, first 2 shown]
	v_fma_f16 v11, v24, -0.5, v11
	v_fma_f16 v19, v20, s4, v10
	v_fma_f16 v10, v20, s5, v10
	;; [unrolled: 1-line block ×4, first 2 shown]
	v_add_f16_e32 v21, v21, v9
	v_fma_f16 v4, v8, -0.5, v4
	v_sub_f16_e32 v8, v13, v17
	v_fma_f16 v12, v25, s4, v11
	v_fma_f16 v9, v8, s5, v4
	v_pack_b32_f16 v7, v16, v7
	v_pack_b32_f16 v6, v10, v6
	;; [unrolled: 1-line block ×3, first 2 shown]
	v_fma_f16 v11, v25, s5, v11
	v_fma_f16 v4, v8, s4, v4
	v_pack_b32_f16 v8, v19, v20
	ds_write2_b32 v14, v7, v10 offset1:99
	v_pack_b32_f16 v7, v12, v9
	ds_write2_b32 v1, v8, v7 offset0:70 offset1:169
	v_pack_b32_f16 v1, v11, v4
	ds_write2_b32 v15, v6, v1 offset0:140 offset1:239
	s_waitcnt lgkmcnt(0)
	s_barrier
	ds_read_b32 v4, v14
	v_lshlrev_b32_e32 v1, 2, v0
	v_sub_u32_e32 v8, 0, v1
                                        ; implicit-def: $vgpr10
                                        ; implicit-def: $vgpr9
                                        ; implicit-def: $vgpr6_vgpr7
	s_and_saveexec_b64 s[4:5], s[0:1]
	s_xor_b64 s[4:5], exec, s[4:5]
	s_cbranch_execz .LBB0_15
; %bb.14:
	v_mov_b32_e32 v1, v5
	v_lshlrev_b64 v[5:6], 2, v[0:1]
	v_mov_b32_e32 v7, s9
	v_add_co_u32_e64 v5, s[0:1], s8, v5
	v_addc_co_u32_e64 v6, s[0:1], v7, v6, s[0:1]
	global_load_dword v5, v[5:6], off offset:2332
	ds_read_b32 v6, v8 offset:2376
	s_waitcnt lgkmcnt(0)
	v_add_f16_sdwa v9, v6, v4 dst_sel:DWORD dst_unused:UNUSED_PAD src0_sel:WORD_1 src1_sel:WORD_1
	v_sub_f16_e32 v10, v4, v6
	v_add_f16_e32 v7, v6, v4
	v_sub_f16_sdwa v4, v4, v6 dst_sel:DWORD dst_unused:UNUSED_PAD src0_sel:WORD_1 src1_sel:WORD_1
	v_mul_f16_e32 v6, 0.5, v9
	v_mul_f16_e32 v9, 0.5, v10
	;; [unrolled: 1-line block ×3, first 2 shown]
	s_waitcnt vmcnt(0)
	v_lshrrev_b32_e32 v10, 16, v5
	v_mul_f16_e32 v11, v10, v9
	v_fma_f16 v12, v6, v10, v4
	v_fma_f16 v4, v6, v10, -v4
	v_fma_f16 v10, v7, 0.5, v11
	v_fma_f16 v7, v7, 0.5, -v11
	v_fma_f16 v12, -v5, v9, v12
	v_fma_f16 v4, -v5, v9, v4
	v_fma_f16 v9, v5, v6, v10
	v_fma_f16 v10, -v5, v6, v7
	v_mov_b32_e32 v7, v1
	ds_write_b16 v14, v12 offset:2
	ds_write_b16 v8, v4 offset:2378
	v_mov_b32_e32 v6, v0
                                        ; implicit-def: $vgpr4
.LBB0_15:
	s_andn2_saveexec_b64 s[0:1], s[4:5]
	s_cbranch_execz .LBB0_17
; %bb.16:
	v_mov_b32_e32 v1, 0
	ds_write_b16 v14, v1 offset:2
	ds_write_b16 v8, v1 offset:2378
	ds_read_u16 v5, v1 offset:1190
	v_mov_b32_e32 v6, 0
	s_waitcnt lgkmcnt(3)
	v_add_f16_sdwa v9, v4, v4 dst_sel:DWORD dst_unused:UNUSED_PAD src0_sel:WORD_1 src1_sel:DWORD
	v_sub_f16_sdwa v10, v4, v4 dst_sel:DWORD dst_unused:UNUSED_PAD src0_sel:DWORD src1_sel:WORD_1
	v_mov_b32_e32 v7, 0
	s_waitcnt lgkmcnt(0)
	v_xor_b32_e32 v4, 0x8000, v5
	ds_write_b16 v1, v4 offset:1190
.LBB0_17:
	s_or_b64 exec, exec, s[0:1]
	s_add_u32 s0, s8, 0x91c
	s_waitcnt lgkmcnt(0)
	v_lshlrev_b64 v[4:5], 2, v[6:7]
	s_addc_u32 s1, s9, 0
	v_mov_b32_e32 v1, s1
	v_add_co_u32_e64 v6, s[0:1], s0, v4
	v_addc_co_u32_e64 v7, s[0:1], v1, v5, s[0:1]
	global_load_dword v1, v[6:7], off offset:396
	global_load_dword v11, v[6:7], off offset:792
	ds_write_b16 v14, v9
	ds_write_b16 v8, v10 offset:2376
	ds_read_b32 v6, v14 offset:396
	ds_read_b32 v7, v8 offset:1980
	s_mov_b32 s0, 0xffff
	s_waitcnt lgkmcnt(0)
	v_pk_add_f16 v9, v6, v7 neg_lo:[0,1] neg_hi:[0,1]
	v_pk_add_f16 v6, v6, v7
	v_bfi_b32 v7, s0, v9, v6
	v_bfi_b32 v6, s0, v6, v9
	v_pk_mul_f16 v7, v7, 0.5 op_sel_hi:[1,0]
	v_pk_mul_f16 v9, v6, 0.5 op_sel_hi:[1,0]
	s_waitcnt vmcnt(1)
	v_pk_mul_f16 v10, v1, v7 op_sel:[1,0]
	v_pk_mul_f16 v1, v1, v7 op_sel_hi:[0,1]
	v_pk_fma_f16 v6, v6, 0.5, v10 op_sel_hi:[1,0,1]
	v_sub_f16_e32 v7, v9, v10
	v_sub_f16_sdwa v9, v10, v9 dst_sel:DWORD dst_unused:UNUSED_PAD src0_sel:WORD_1 src1_sel:WORD_1
	v_pk_add_f16 v10, v6, v1 op_sel:[0,1] op_sel_hi:[1,0]
	v_pk_add_f16 v6, v6, v1 op_sel:[0,1] op_sel_hi:[1,0] neg_lo:[0,1] neg_hi:[0,1]
	v_sub_f16_sdwa v7, v7, v1 dst_sel:DWORD dst_unused:UNUSED_PAD src0_sel:DWORD src1_sel:WORD_1
	v_sub_f16_e32 v1, v9, v1
	v_bfi_b32 v6, s0, v10, v6
	ds_write_b16 v8, v1 offset:1982
	ds_write_b32 v14, v6 offset:396
	ds_write_b16 v8, v7 offset:1980
	ds_read_b32 v1, v14 offset:792
	ds_read_b32 v6, v8 offset:1584
	s_waitcnt lgkmcnt(0)
	v_pk_add_f16 v7, v1, v6 neg_lo:[0,1] neg_hi:[0,1]
	v_pk_add_f16 v1, v1, v6
	v_bfi_b32 v6, s0, v7, v1
	v_bfi_b32 v1, s0, v1, v7
	v_pk_mul_f16 v6, v6, 0.5 op_sel_hi:[1,0]
	v_pk_mul_f16 v1, v1, 0.5 op_sel_hi:[1,0]
	s_waitcnt vmcnt(0)
	v_pk_fma_f16 v7, v11, v6, v1 op_sel:[1,0,0]
	v_pk_mul_f16 v9, v11, v6 op_sel_hi:[0,1]
	v_pk_fma_f16 v10, v11, v6, v1 op_sel:[1,0,0] neg_lo:[1,0,0] neg_hi:[1,0,0]
	v_pk_fma_f16 v1, v11, v6, v1 op_sel:[1,0,0] neg_lo:[0,0,1] neg_hi:[0,0,1]
	v_pk_add_f16 v6, v7, v9 op_sel:[0,1] op_sel_hi:[1,0]
	v_pk_add_f16 v7, v7, v9 op_sel:[0,1] op_sel_hi:[1,0] neg_lo:[0,1] neg_hi:[0,1]
	v_pk_add_f16 v10, v10, v9 op_sel:[0,1] op_sel_hi:[1,0] neg_lo:[0,1] neg_hi:[0,1]
	;; [unrolled: 1-line block ×3, first 2 shown]
	v_bfi_b32 v6, s0, v6, v7
	v_bfi_b32 v1, s0, v10, v1
	ds_write_b32 v14, v6 offset:792
	ds_write_b32 v8, v1 offset:1584
	s_waitcnt lgkmcnt(0)
	s_barrier
	s_and_saveexec_b64 s[0:1], vcc
	s_cbranch_execz .LBB0_20
; %bb.18:
	v_mov_b32_e32 v8, s3
	v_add_co_u32_e32 v1, vcc, s2, v2
	v_addc_co_u32_e32 v2, vcc, v8, v3, vcc
	ds_read2_b32 v[6:7], v14 offset1:99
	v_add_co_u32_e32 v3, vcc, v1, v4
	v_addc_co_u32_e32 v4, vcc, v2, v5, vcc
	v_add_u32_e32 v5, 0x200, v14
	ds_read2_b32 v[8:9], v5 offset0:70 offset1:169
	v_add_u32_e32 v5, 0x400, v14
	s_movk_i32 s0, 0x62
	ds_read2_b32 v[10:11], v5 offset0:140 offset1:239
	v_cmp_eq_u32_e32 vcc, s0, v0
	s_waitcnt lgkmcnt(2)
	global_store_dword v[3:4], v6, off
	global_store_dword v[3:4], v7, off offset:396
	s_waitcnt lgkmcnt(1)
	global_store_dword v[3:4], v8, off offset:792
	global_store_dword v[3:4], v9, off offset:1188
	s_waitcnt lgkmcnt(0)
	global_store_dword v[3:4], v10, off offset:1584
	global_store_dword v[3:4], v11, off offset:1980
	s_and_b64 exec, exec, vcc
	s_cbranch_execz .LBB0_20
; %bb.19:
	v_mov_b32_e32 v0, 0
	ds_read_b32 v0, v0 offset:2376
	s_waitcnt lgkmcnt(0)
	global_store_dword v[1:2], v0, off offset:2376
.LBB0_20:
	s_endpgm
	.section	.rodata,"a",@progbits
	.p2align	6, 0x0
	.amdhsa_kernel fft_rtc_back_len594_factors_11_3_6_3_wgs_99_tpt_99_half_ip_CI_unitstride_sbrr_R2C_dirReg
		.amdhsa_group_segment_fixed_size 0
		.amdhsa_private_segment_fixed_size 0
		.amdhsa_kernarg_size 88
		.amdhsa_user_sgpr_count 6
		.amdhsa_user_sgpr_private_segment_buffer 1
		.amdhsa_user_sgpr_dispatch_ptr 0
		.amdhsa_user_sgpr_queue_ptr 0
		.amdhsa_user_sgpr_kernarg_segment_ptr 1
		.amdhsa_user_sgpr_dispatch_id 0
		.amdhsa_user_sgpr_flat_scratch_init 0
		.amdhsa_user_sgpr_private_segment_size 0
		.amdhsa_uses_dynamic_stack 0
		.amdhsa_system_sgpr_private_segment_wavefront_offset 0
		.amdhsa_system_sgpr_workgroup_id_x 1
		.amdhsa_system_sgpr_workgroup_id_y 0
		.amdhsa_system_sgpr_workgroup_id_z 0
		.amdhsa_system_sgpr_workgroup_info 0
		.amdhsa_system_vgpr_workitem_id 0
		.amdhsa_next_free_vgpr 61
		.amdhsa_next_free_sgpr 22
		.amdhsa_reserve_vcc 1
		.amdhsa_reserve_flat_scratch 0
		.amdhsa_float_round_mode_32 0
		.amdhsa_float_round_mode_16_64 0
		.amdhsa_float_denorm_mode_32 3
		.amdhsa_float_denorm_mode_16_64 3
		.amdhsa_dx10_clamp 1
		.amdhsa_ieee_mode 1
		.amdhsa_fp16_overflow 0
		.amdhsa_exception_fp_ieee_invalid_op 0
		.amdhsa_exception_fp_denorm_src 0
		.amdhsa_exception_fp_ieee_div_zero 0
		.amdhsa_exception_fp_ieee_overflow 0
		.amdhsa_exception_fp_ieee_underflow 0
		.amdhsa_exception_fp_ieee_inexact 0
		.amdhsa_exception_int_div_zero 0
	.end_amdhsa_kernel
	.text
.Lfunc_end0:
	.size	fft_rtc_back_len594_factors_11_3_6_3_wgs_99_tpt_99_half_ip_CI_unitstride_sbrr_R2C_dirReg, .Lfunc_end0-fft_rtc_back_len594_factors_11_3_6_3_wgs_99_tpt_99_half_ip_CI_unitstride_sbrr_R2C_dirReg
                                        ; -- End function
	.section	.AMDGPU.csdata,"",@progbits
; Kernel info:
; codeLenInByte = 6032
; NumSgprs: 26
; NumVgprs: 61
; ScratchSize: 0
; MemoryBound: 0
; FloatMode: 240
; IeeeMode: 1
; LDSByteSize: 0 bytes/workgroup (compile time only)
; SGPRBlocks: 3
; VGPRBlocks: 15
; NumSGPRsForWavesPerEU: 26
; NumVGPRsForWavesPerEU: 61
; Occupancy: 4
; WaveLimiterHint : 1
; COMPUTE_PGM_RSRC2:SCRATCH_EN: 0
; COMPUTE_PGM_RSRC2:USER_SGPR: 6
; COMPUTE_PGM_RSRC2:TRAP_HANDLER: 0
; COMPUTE_PGM_RSRC2:TGID_X_EN: 1
; COMPUTE_PGM_RSRC2:TGID_Y_EN: 0
; COMPUTE_PGM_RSRC2:TGID_Z_EN: 0
; COMPUTE_PGM_RSRC2:TIDIG_COMP_CNT: 0
	.type	__hip_cuid_62460929c6bd33a6,@object ; @__hip_cuid_62460929c6bd33a6
	.section	.bss,"aw",@nobits
	.globl	__hip_cuid_62460929c6bd33a6
__hip_cuid_62460929c6bd33a6:
	.byte	0                               ; 0x0
	.size	__hip_cuid_62460929c6bd33a6, 1

	.ident	"AMD clang version 19.0.0git (https://github.com/RadeonOpenCompute/llvm-project roc-6.4.0 25133 c7fe45cf4b819c5991fe208aaa96edf142730f1d)"
	.section	".note.GNU-stack","",@progbits
	.addrsig
	.addrsig_sym __hip_cuid_62460929c6bd33a6
	.amdgpu_metadata
---
amdhsa.kernels:
  - .args:
      - .actual_access:  read_only
        .address_space:  global
        .offset:         0
        .size:           8
        .value_kind:     global_buffer
      - .offset:         8
        .size:           8
        .value_kind:     by_value
      - .actual_access:  read_only
        .address_space:  global
        .offset:         16
        .size:           8
        .value_kind:     global_buffer
      - .actual_access:  read_only
        .address_space:  global
        .offset:         24
        .size:           8
        .value_kind:     global_buffer
      - .offset:         32
        .size:           8
        .value_kind:     by_value
      - .actual_access:  read_only
        .address_space:  global
        .offset:         40
        .size:           8
        .value_kind:     global_buffer
      - .actual_access:  read_only
        .address_space:  global
        .offset:         48
        .size:           8
        .value_kind:     global_buffer
      - .offset:         56
        .size:           4
        .value_kind:     by_value
      - .actual_access:  read_only
        .address_space:  global
        .offset:         64
        .size:           8
        .value_kind:     global_buffer
      - .actual_access:  read_only
        .address_space:  global
        .offset:         72
        .size:           8
        .value_kind:     global_buffer
      - .address_space:  global
        .offset:         80
        .size:           8
        .value_kind:     global_buffer
    .group_segment_fixed_size: 0
    .kernarg_segment_align: 8
    .kernarg_segment_size: 88
    .language:       OpenCL C
    .language_version:
      - 2
      - 0
    .max_flat_workgroup_size: 99
    .name:           fft_rtc_back_len594_factors_11_3_6_3_wgs_99_tpt_99_half_ip_CI_unitstride_sbrr_R2C_dirReg
    .private_segment_fixed_size: 0
    .sgpr_count:     26
    .sgpr_spill_count: 0
    .symbol:         fft_rtc_back_len594_factors_11_3_6_3_wgs_99_tpt_99_half_ip_CI_unitstride_sbrr_R2C_dirReg.kd
    .uniform_work_group_size: 1
    .uses_dynamic_stack: false
    .vgpr_count:     61
    .vgpr_spill_count: 0
    .wavefront_size: 64
amdhsa.target:   amdgcn-amd-amdhsa--gfx906
amdhsa.version:
  - 1
  - 2
...

	.end_amdgpu_metadata
